;; amdgpu-corpus repo=ROCm/rocFFT kind=compiled arch=gfx906 opt=O3
	.text
	.amdgcn_target "amdgcn-amd-amdhsa--gfx906"
	.amdhsa_code_object_version 6
	.protected	bluestein_single_fwd_len896_dim1_sp_op_CI_CI ; -- Begin function bluestein_single_fwd_len896_dim1_sp_op_CI_CI
	.globl	bluestein_single_fwd_len896_dim1_sp_op_CI_CI
	.p2align	8
	.type	bluestein_single_fwd_len896_dim1_sp_op_CI_CI,@function
bluestein_single_fwd_len896_dim1_sp_op_CI_CI: ; @bluestein_single_fwd_len896_dim1_sp_op_CI_CI
; %bb.0:
	s_load_dwordx4 s[16:19], s[4:5], 0x28
	v_mul_u32_u24_e32 v1, 0x24a, v0
	v_add_u32_sdwa v52, s6, v1 dst_sel:DWORD dst_unused:UNUSED_PAD src0_sel:DWORD src1_sel:WORD_1
	v_mov_b32_e32 v53, 0
	s_waitcnt lgkmcnt(0)
	v_cmp_gt_u64_e32 vcc, s[16:17], v[52:53]
	s_and_saveexec_b64 s[0:1], vcc
	s_cbranch_execz .LBB0_10
; %bb.1:
	s_load_dwordx4 s[0:3], s[4:5], 0x18
	s_load_dwordx4 s[12:15], s[4:5], 0x0
                                        ; implicit-def: $vgpr85
                                        ; implicit-def: $vgpr38
	s_waitcnt lgkmcnt(0)
	s_load_dwordx4 s[8:11], s[0:1], 0x0
	s_movk_i32 s0, 0x70
	v_mul_lo_u16_sdwa v1, v1, s0 dst_sel:DWORD dst_unused:UNUSED_PAD src0_sel:WORD_1 src1_sel:DWORD
	v_sub_u16_e32 v90, v0, v1
	v_lshlrev_b32_e32 v89, 3, v90
	s_waitcnt lgkmcnt(0)
	v_mad_u64_u32 v[0:1], s[6:7], s10, v52, 0
	v_mad_u64_u32 v[2:3], s[6:7], s8, v90, 0
	s_mul_i32 s1, s9, 0xe00
	global_load_dwordx2 v[61:62], v89, s[12:13] offset:3584
	v_mad_u64_u32 v[4:5], s[6:7], s11, v52, v[1:2]
	global_load_dwordx2 v[63:64], v89, s[12:13]
	global_load_dwordx2 v[59:60], v89, s[12:13] offset:896
	v_lshlrev_b32_e32 v91, 4, v90
	v_mad_u64_u32 v[5:6], s[6:7], s9, v90, v[3:4]
	v_mov_b32_e32 v1, v4
	v_lshlrev_b64 v[0:1], 3, v[0:1]
	v_mov_b32_e32 v6, s19
	v_mov_b32_e32 v3, v5
	v_add_co_u32_e32 v4, vcc, s18, v0
	v_addc_co_u32_e32 v5, vcc, v6, v1, vcc
	v_lshlrev_b64 v[0:1], 3, v[2:3]
	v_mov_b32_e32 v2, s13
	v_add_co_u32_e32 v0, vcc, v4, v0
	v_addc_co_u32_e32 v1, vcc, v5, v1, vcc
	v_add_co_u32_e32 v16, vcc, s12, v89
	s_mul_hi_u32 s6, s8, 0xe00
	v_addc_co_u32_e32 v17, vcc, 0, v2, vcc
	s_add_i32 s1, s6, s1
	s_mul_i32 s6, s8, 0xe00
	s_mul_i32 s7, s9, 0xfffff580
	s_mul_hi_u32 s9, s8, 0xfffff580
	v_mov_b32_e32 v3, s1
	v_add_co_u32_e32 v2, vcc, s6, v0
	s_sub_i32 s9, s9, s8
	v_addc_co_u32_e32 v3, vcc, v1, v3, vcc
	s_add_i32 s7, s9, s7
	s_mulk_i32 s8, 0xf580
	v_mov_b32_e32 v5, s7
	v_add_co_u32_e32 v4, vcc, s8, v2
	v_addc_co_u32_e32 v5, vcc, v3, v5, vcc
	v_mov_b32_e32 v7, s1
	v_add_co_u32_e32 v6, vcc, s6, v4
	v_addc_co_u32_e32 v7, vcc, v5, v7, vcc
	s_movk_i32 s9, 0x1000
	global_load_dwordx2 v[8:9], v[0:1], off
	global_load_dwordx2 v[10:11], v[2:3], off
	;; [unrolled: 1-line block ×4, first 2 shown]
	v_add_co_u32_e32 v0, vcc, s9, v16
	v_addc_co_u32_e32 v1, vcc, 0, v17, vcc
	v_mov_b32_e32 v3, s7
	v_add_co_u32_e32 v2, vcc, s8, v6
	v_addc_co_u32_e32 v3, vcc, v7, v3, vcc
	global_load_dwordx2 v[57:58], v[0:1], off offset:384
	global_load_dwordx2 v[4:5], v[2:3], off
	global_load_dwordx2 v[55:56], v89, s[12:13] offset:1792
	v_mov_b32_e32 v6, s1
	v_add_co_u32_e32 v2, vcc, s6, v2
	v_addc_co_u32_e32 v3, vcc, v3, v6, vcc
	global_load_dwordx2 v[6:7], v[2:3], off
	global_load_dwordx2 v[53:54], v[0:1], off offset:1280
	v_mov_b32_e32 v16, s7
	v_add_co_u32_e32 v2, vcc, s8, v2
	v_addc_co_u32_e32 v3, vcc, v3, v16, vcc
	global_load_dwordx2 v[16:17], v[2:3], off
	global_load_dwordx2 v[50:51], v89, s[12:13] offset:2688
	v_mov_b32_e32 v18, s1
	v_add_co_u32_e32 v2, vcc, s6, v2
	v_addc_co_u32_e32 v3, vcc, v3, v18, vcc
	global_load_dwordx2 v[48:49], v[0:1], off offset:2176
	global_load_dwordx2 v[18:19], v[2:3], off
	s_load_dwordx4 s[8:11], s[2:3], 0x0
	v_add_u32_e32 v119, 0xe0, v90
	v_add_u32_e32 v120, 0x150, v90
	s_movk_i32 s1, 0x1f0
	s_movk_i32 s2, 0x3f0
	;; [unrolled: 1-line block ×3, first 2 shown]
	s_waitcnt vmcnt(12)
	v_mul_f32_e32 v0, v9, v64
	s_waitcnt vmcnt(11)
	v_mul_f32_e32 v2, v11, v62
	v_mul_f32_e32 v3, v10, v62
	v_fmac_f32_e32 v2, v10, v61
	v_fma_f32 v3, v11, v61, -v3
	v_mul_f32_e32 v1, v8, v64
	ds_write_b64 v89, v[2:3] offset:3584
	s_waitcnt vmcnt(10)
	v_mul_f32_e32 v2, v13, v60
	v_mul_f32_e32 v3, v12, v60
	v_fmac_f32_e32 v0, v8, v63
	v_fma_f32 v1, v9, v63, -v1
	v_fmac_f32_e32 v2, v12, v59
	v_fma_f32 v3, v13, v59, -v3
	ds_write2_b64 v89, v[0:1], v[2:3] offset1:112
	s_waitcnt vmcnt(6)
	v_mul_f32_e32 v2, v5, v56
	v_mul_f32_e32 v3, v4, v56
	;; [unrolled: 1-line block ×4, first 2 shown]
	v_fmac_f32_e32 v2, v4, v55
	v_fma_f32 v3, v5, v55, -v3
	s_waitcnt vmcnt(4)
	v_mul_f32_e32 v4, v7, v54
	v_mul_f32_e32 v5, v6, v54
	v_fmac_f32_e32 v0, v14, v57
	v_fma_f32 v1, v15, v57, -v1
	v_fmac_f32_e32 v4, v6, v53
	v_fma_f32 v5, v7, v53, -v5
	v_add_u32_e32 v6, 0x1000, v89
	ds_write2_b64 v6, v[0:1], v[4:5] offset0:48 offset1:160
	s_waitcnt vmcnt(2)
	v_mul_f32_e32 v4, v17, v51
	v_mul_f32_e32 v0, v16, v51
	v_fmac_f32_e32 v4, v16, v50
	v_fma_f32 v5, v17, v50, -v0
	v_add_u32_e32 v1, 0x400, v89
	ds_write2_b64 v1, v[2:3], v[4:5] offset0:96 offset1:208
	s_waitcnt vmcnt(0)
	v_mul_f32_e32 v2, v19, v49
	v_mul_f32_e32 v0, v18, v49
	v_fmac_f32_e32 v2, v18, v48
	v_fma_f32 v3, v19, v48, -v0
	ds_write_b64 v89, v[2:3] offset:6272
	s_waitcnt lgkmcnt(0)
	s_barrier
	ds_read2_b64 v[4:7], v89 offset1:112
	v_add_u32_e32 v2, 0xc00, v89
	v_add_u32_e32 v3, 0x1400, v89
	ds_read2_b64 v[8:11], v2 offset0:64 offset1:176
	ds_read2_b64 v[12:15], v1 offset0:96 offset1:208
	;; [unrolled: 1-line block ×3, first 2 shown]
	v_add_co_u32_e32 v0, vcc, s0, v90
	s_waitcnt lgkmcnt(2)
	v_sub_f32_e32 v18, v4, v8
	v_sub_f32_e32 v19, v5, v9
	;; [unrolled: 1-line block ×4, first 2 shown]
	v_fma_f32 v16, v4, 2.0, -v18
	v_fma_f32 v17, v5, 2.0, -v19
	;; [unrolled: 1-line block ×4, first 2 shown]
	s_waitcnt lgkmcnt(0)
	v_sub_f32_e32 v24, v12, v20
	v_sub_f32_e32 v25, v13, v21
	;; [unrolled: 1-line block ×4, first 2 shown]
	v_lshlrev_b32_e32 v92, 4, v0
	v_fma_f32 v22, v12, 2.0, -v24
	v_fma_f32 v23, v13, 2.0, -v25
	;; [unrolled: 1-line block ×4, first 2 shown]
	s_barrier
	ds_write_b128 v91, v[16:19]
	ds_write_b128 v92, v[6:9]
	ds_write_b128 v91, v[22:25] offset:3584
	ds_write_b128 v91, v[26:29] offset:5376
	v_and_b32_e32 v24, 1, v90
	v_lshlrev_b32_e32 v4, 3, v24
	s_waitcnt lgkmcnt(0)
	s_barrier
	global_load_dwordx2 v[65:66], v4, s[14:15]
	ds_read2_b64 v[4:7], v2 offset0:64 offset1:176
	ds_read2_b64 v[8:11], v3 offset0:32 offset1:144
	ds_read2_b64 v[12:15], v89 offset1:112
	s_movk_i32 s0, 0xfc
	s_waitcnt vmcnt(0) lgkmcnt(2)
	v_mul_f32_e32 v16, v5, v66
	v_mul_f32_e32 v17, v4, v66
	;; [unrolled: 1-line block ×4, first 2 shown]
	s_waitcnt lgkmcnt(1)
	v_mul_f32_e32 v20, v9, v66
	v_fma_f32 v4, v4, v65, -v16
	v_mul_f32_e32 v21, v8, v66
	v_fmac_f32_e32 v17, v5, v65
	v_fma_f32 v16, v6, v65, -v18
	v_fmac_f32_e32 v19, v7, v65
	v_fma_f32 v18, v8, v65, -v20
	s_waitcnt lgkmcnt(0)
	v_sub_f32_e32 v8, v12, v4
	ds_read2_b64 v[4:7], v1 offset0:96 offset1:208
	v_mul_f32_e32 v22, v11, v66
	v_mul_f32_e32 v23, v10, v66
	v_fmac_f32_e32 v21, v9, v65
	v_fma_f32 v20, v10, v65, -v22
	v_fma_f32 v10, v12, 2.0, -v8
	v_sub_f32_e32 v12, v14, v16
	s_waitcnt lgkmcnt(0)
	v_sub_f32_e32 v16, v4, v18
	v_sub_f32_e32 v9, v13, v17
	;; [unrolled: 1-line block ×4, first 2 shown]
	v_fma_f32 v20, v4, 2.0, -v16
	v_lshlrev_b32_e32 v4, 1, v90
	v_fma_f32 v21, v5, 2.0, -v17
	v_and_or_b32 v5, v4, s0, v24
	v_lshlrev_b32_e32 v93, 3, v5
	v_lshlrev_b32_e32 v5, 1, v0
	s_movk_i32 s0, 0x1fc
	v_fmac_f32_e32 v23, v11, v65
	v_fma_f32 v22, v6, 2.0, -v18
	v_and_or_b32 v6, v5, s0, v24
	v_fma_f32 v11, v13, 2.0, -v9
	v_sub_f32_e32 v13, v15, v19
	v_sub_f32_e32 v19, v7, v23
	v_lshlrev_b32_e32 v94, 3, v6
	v_lshlrev_b32_e32 v6, 1, v119
	s_movk_i32 s0, 0x3fc
	v_fma_f32 v23, v7, 2.0, -v19
	v_and_or_b32 v7, v6, s0, v24
	v_lshlrev_b32_e32 v95, 3, v7
	v_lshlrev_b32_e32 v7, 1, v120
	s_barrier
	ds_write2_b64 v93, v[10:11], v[8:9] offset1:2
	v_and_or_b32 v8, v7, s0, v24
	v_and_b32_e32 v24, 3, v90
	v_fma_f32 v14, v14, 2.0, -v12
	v_fma_f32 v15, v15, 2.0, -v13
	v_lshlrev_b32_e32 v96, 3, v8
	v_lshlrev_b32_e32 v8, 3, v24
	ds_write2_b64 v94, v[14:15], v[12:13] offset1:2
	ds_write2_b64 v95, v[20:21], v[16:17] offset1:2
	;; [unrolled: 1-line block ×3, first 2 shown]
	s_waitcnt lgkmcnt(0)
	s_barrier
	global_load_dwordx2 v[67:68], v8, s[14:15] offset:16
	ds_read2_b64 v[8:11], v2 offset0:64 offset1:176
	ds_read2_b64 v[12:15], v3 offset0:32 offset1:144
	ds_read2_b64 v[16:19], v89 offset1:112
	ds_read2_b64 v[20:23], v1 offset0:96 offset1:208
	s_movk_i32 s0, 0xf8
	s_waitcnt vmcnt(0) lgkmcnt(0)
	s_barrier
	v_mul_f32_e32 v25, v9, v68
	v_mul_f32_e32 v26, v8, v68
	v_fma_f32 v8, v8, v67, -v25
	v_fmac_f32_e32 v26, v9, v67
	v_sub_f32_e32 v8, v16, v8
	v_sub_f32_e32 v9, v17, v26
	v_and_or_b32 v25, v4, s0, v24
	v_fma_f32 v16, v16, 2.0, -v8
	v_fma_f32 v17, v17, 2.0, -v9
	v_lshlrev_b32_e32 v97, 3, v25
	s_movk_i32 s0, 0x1f8
	ds_write2_b64 v97, v[16:17], v[8:9] offset1:4
	v_and_or_b32 v8, v5, s0, v24
	s_movk_i32 s0, 0x3f8
	v_mul_f32_e32 v27, v11, v68
	v_mul_f32_e32 v28, v10, v68
	;; [unrolled: 1-line block ×6, first 2 shown]
	v_lshlrev_b32_e32 v98, 3, v8
	v_and_or_b32 v8, v6, s0, v24
	v_fma_f32 v10, v10, v67, -v27
	v_fmac_f32_e32 v28, v11, v67
	v_fma_f32 v12, v12, v67, -v29
	v_fmac_f32_e32 v30, v13, v67
	;; [unrolled: 2-line block ×3, first 2 shown]
	v_lshlrev_b32_e32 v99, 3, v8
	v_and_or_b32 v8, v7, s0, v24
	v_sub_f32_e32 v10, v18, v10
	v_sub_f32_e32 v11, v19, v28
	;; [unrolled: 1-line block ×6, first 2 shown]
	v_lshlrev_b32_e32 v100, 3, v8
	v_and_b32_e32 v8, 7, v90
	v_fma_f32 v18, v18, 2.0, -v10
	v_fma_f32 v19, v19, 2.0, -v11
	;; [unrolled: 1-line block ×6, first 2 shown]
	v_lshlrev_b32_e32 v9, 3, v8
	ds_write2_b64 v98, v[18:19], v[10:11] offset1:4
	ds_write2_b64 v99, v[20:21], v[12:13] offset1:4
	ds_write2_b64 v100, v[22:23], v[14:15] offset1:4
	s_waitcnt lgkmcnt(0)
	s_barrier
	global_load_dwordx2 v[69:70], v9, s[14:15] offset:48
	s_movk_i32 s0, 0xf0
	v_and_or_b32 v9, v4, s0, v8
	v_lshlrev_b32_e32 v104, 3, v9
	v_and_or_b32 v9, v5, s1, v8
	v_and_or_b32 v10, v6, s2, v8
	;; [unrolled: 1-line block ×3, first 2 shown]
	v_lshlrev_b32_e32 v103, 3, v9
	v_lshlrev_b32_e32 v102, 3, v10
	;; [unrolled: 1-line block ×3, first 2 shown]
	ds_read2_b64 v[8:11], v2 offset0:64 offset1:176
	ds_read2_b64 v[12:15], v3 offset0:32 offset1:144
	ds_read2_b64 v[16:19], v89 offset1:112
	ds_read2_b64 v[20:23], v1 offset0:96 offset1:208
	v_and_b32_e32 v24, 15, v90
	v_lshlrev_b32_e32 v25, 3, v24
	s_waitcnt vmcnt(0) lgkmcnt(0)
	s_barrier
	s_movk_i32 s0, 0xe0
	s_movk_i32 s1, 0x1e0
	;; [unrolled: 1-line block ×3, first 2 shown]
	v_mul_f32_e32 v26, v9, v70
	v_mul_f32_e32 v27, v8, v70
	;; [unrolled: 1-line block ×8, first 2 shown]
	v_fma_f32 v8, v8, v69, -v26
	v_fmac_f32_e32 v27, v9, v69
	v_fma_f32 v10, v10, v69, -v28
	v_fmac_f32_e32 v29, v11, v69
	;; [unrolled: 2-line block ×4, first 2 shown]
	v_sub_f32_e32 v8, v16, v8
	v_sub_f32_e32 v9, v17, v27
	;; [unrolled: 1-line block ×8, first 2 shown]
	v_fma_f32 v16, v16, 2.0, -v8
	v_fma_f32 v17, v17, 2.0, -v9
	;; [unrolled: 1-line block ×8, first 2 shown]
	ds_write2_b64 v104, v[16:17], v[8:9] offset1:8
	ds_write2_b64 v103, v[18:19], v[10:11] offset1:8
	;; [unrolled: 1-line block ×4, first 2 shown]
	s_waitcnt lgkmcnt(0)
	s_barrier
	global_load_dwordx2 v[71:72], v25, s[14:15] offset:112
	v_and_or_b32 v8, v4, s0, v24
	v_lshlrev_b32_e32 v107, 3, v8
	v_and_or_b32 v8, v5, s1, v24
	v_and_or_b32 v9, v6, s2, v24
	;; [unrolled: 1-line block ×3, first 2 shown]
	v_lshlrev_b32_e32 v108, 3, v8
	v_lshlrev_b32_e32 v106, 3, v9
	;; [unrolled: 1-line block ×3, first 2 shown]
	ds_read2_b64 v[8:11], v2 offset0:64 offset1:176
	ds_read2_b64 v[12:15], v3 offset0:32 offset1:144
	ds_read2_b64 v[16:19], v89 offset1:112
	ds_read2_b64 v[20:23], v1 offset0:96 offset1:208
	v_and_b32_e32 v27, 31, v120
	v_and_b32_e32 v25, 31, v90
	v_lshlrev_b32_e32 v24, 3, v27
	s_waitcnt vmcnt(0) lgkmcnt(0)
	s_barrier
	v_lshlrev_b32_e32 v26, 3, v25
	s_movk_i32 s0, 0xc0
	s_movk_i32 s1, 0x1c0
	;; [unrolled: 1-line block ×3, first 2 shown]
	v_mul_f32_e32 v28, v9, v72
	v_mul_f32_e32 v29, v8, v72
	;; [unrolled: 1-line block ×8, first 2 shown]
	v_fma_f32 v8, v8, v71, -v28
	v_fmac_f32_e32 v29, v9, v71
	v_fma_f32 v10, v10, v71, -v30
	v_fmac_f32_e32 v31, v11, v71
	;; [unrolled: 2-line block ×4, first 2 shown]
	v_sub_f32_e32 v8, v16, v8
	v_sub_f32_e32 v9, v17, v29
	;; [unrolled: 1-line block ×8, first 2 shown]
	v_fma_f32 v16, v16, 2.0, -v8
	v_fma_f32 v17, v17, 2.0, -v9
	;; [unrolled: 1-line block ×8, first 2 shown]
	ds_write2_b64 v107, v[16:17], v[8:9] offset1:16
	ds_write2_b64 v108, v[18:19], v[10:11] offset1:16
	;; [unrolled: 1-line block ×4, first 2 shown]
	v_and_b32_e32 v8, 31, v0
	s_waitcnt lgkmcnt(0)
	s_barrier
	global_load_dwordx2 v[73:74], v24, s[14:15] offset:240
	global_load_dwordx2 v[75:76], v26, s[14:15] offset:240
	global_load_dword v109, v24, s[14:15] offset:244
	v_lshlrev_b32_e32 v9, 3, v8
	global_load_dword v110, v9, s[14:15] offset:240
	v_and_or_b32 v9, v4, s0, v25
	v_lshlrev_b32_e32 v114, 3, v9
	v_and_or_b32 v8, v5, s1, v8
	v_and_or_b32 v9, v6, s2, v25
	;; [unrolled: 1-line block ×3, first 2 shown]
	v_lshlrev_b32_e32 v113, 3, v8
	v_lshlrev_b32_e32 v112, 3, v9
	;; [unrolled: 1-line block ×3, first 2 shown]
	ds_read2_b64 v[8:11], v2 offset0:64 offset1:176
	ds_read2_b64 v[12:15], v3 offset0:32 offset1:144
	ds_read2_b64 v[16:19], v89 offset1:112
	ds_read2_b64 v[20:23], v1 offset0:96 offset1:208
	v_and_b32_e32 v24, 63, v90
	v_and_b32_e32 v28, 63, v0
	v_lshlrev_b32_e32 v26, 3, v24
	v_and_b32_e32 v29, 63, v119
	s_waitcnt vmcnt(0) lgkmcnt(0)
	s_barrier
	v_and_b32_e32 v30, 63, v120
	s_movk_i32 s0, 0x80
	s_movk_i32 s1, 0x180
	v_and_or_b32 v4, v4, s0, v24
	v_lshlrev_b32_e32 v118, 3, v4
	v_and_or_b32 v4, v5, s1, v28
	v_and_or_b32 v5, v6, s6, v29
	;; [unrolled: 1-line block ×3, first 2 shown]
	v_lshlrev_b32_e32 v117, 3, v4
	v_lshlrev_b32_e32 v116, 3, v5
	;; [unrolled: 1-line block ×3, first 2 shown]
	s_load_dwordx2 s[2:3], s[4:5], 0x38
	v_cmp_gt_u16_e64 s[0:1], 16, v90
	v_mul_f32_e32 v31, v11, v74
	v_mul_f32_e32 v25, v9, v76
	;; [unrolled: 1-line block ×8, first 2 shown]
	v_fma_f32 v8, v8, v75, -v25
	v_fmac_f32_e32 v27, v9, v75
	v_fma_f32 v10, v10, v110, -v31
	v_fmac_f32_e32 v32, v11, v110
	;; [unrolled: 2-line block ×4, first 2 shown]
	v_sub_f32_e32 v8, v16, v8
	v_sub_f32_e32 v9, v17, v27
	;; [unrolled: 1-line block ×8, first 2 shown]
	v_fma_f32 v16, v16, 2.0, -v8
	v_fma_f32 v17, v17, 2.0, -v9
	;; [unrolled: 1-line block ×8, first 2 shown]
	ds_write2_b64 v114, v[16:17], v[8:9] offset1:32
	ds_write2_b64 v113, v[18:19], v[10:11] offset1:32
	;; [unrolled: 1-line block ×4, first 2 shown]
	v_lshlrev_b32_e32 v8, 3, v28
	s_waitcnt lgkmcnt(0)
	s_barrier
	global_load_dwordx2 v[83:84], v26, s[14:15] offset:496
	global_load_dwordx2 v[81:82], v8, s[14:15] offset:496
	v_lshlrev_b32_e32 v8, 3, v29
	global_load_dwordx2 v[79:80], v8, s[14:15] offset:496
	v_lshlrev_b32_e32 v8, 3, v30
	global_load_dwordx2 v[77:78], v8, s[14:15] offset:496
	ds_read2_b64 v[4:7], v2 offset0:64 offset1:176
	ds_read2_b64 v[8:11], v3 offset0:32 offset1:144
	ds_read2_b64 v[12:15], v89 offset1:112
	ds_read2_b64 v[16:19], v1 offset0:96 offset1:208
	s_waitcnt vmcnt(0) lgkmcnt(0)
	s_barrier
	s_waitcnt lgkmcnt(0)
                                        ; implicit-def: $vgpr34
	v_mul_f32_e32 v1, v5, v84
	v_mul_f32_e32 v2, v4, v84
	;; [unrolled: 1-line block ×8, first 2 shown]
	v_fma_f32 v1, v4, v83, -v1
	v_fmac_f32_e32 v2, v5, v83
	v_fma_f32 v3, v6, v81, -v3
	v_fmac_f32_e32 v20, v7, v81
	;; [unrolled: 2-line block ×4, first 2 shown]
	v_sub_f32_e32 v1, v12, v1
	v_sub_f32_e32 v2, v13, v2
	;; [unrolled: 1-line block ×8, first 2 shown]
	v_fma_f32 v7, v12, 2.0, -v1
	v_fma_f32 v8, v13, 2.0, -v2
	;; [unrolled: 1-line block ×8, first 2 shown]
	ds_write2st64_b64 v118, v[7:8], v[1:2] offset1:1
	ds_write2st64_b64 v117, v[9:10], v[3:4] offset1:1
	;; [unrolled: 1-line block ×4, first 2 shown]
	s_waitcnt lgkmcnt(0)
	s_barrier
	ds_read_b64 v[87:88], v89 offset:6144
	ds_read2st64_b64 v[28:31], v89 offset1:2
	ds_read2st64_b64 v[44:47], v89 offset0:4 offset1:6
	ds_read2st64_b64 v[40:43], v89 offset0:8 offset1:10
	s_and_saveexec_b64 s[4:5], s[0:1]
	s_cbranch_execz .LBB0_3
; %bb.2:
	v_add_u32_e32 v1, 0x180, v89
	ds_read2_b64 v[24:27], v89 offset0:112 offset1:240
	ds_read2st64_b64 v[32:35], v1 offset0:5 offset1:7
	ds_read2st64_b64 v[36:39], v1 offset0:9 offset1:11
	ds_read_b64 v[85:86], v89 offset:7040
.LBB0_3:
	s_or_b64 exec, exec, s[4:5]
	v_mad_u64_u32 v[1:2], s[4:5], v90, 48, s[14:15]
	v_and_b32_e32 v0, 0x7f, v0
	v_mad_u64_u32 v[121:122], s[4:5], v0, 48, s[14:15]
	global_load_dwordx4 v[20:23], v[1:2], off offset:1008
	global_load_dwordx4 v[16:19], v[1:2], off offset:1024
	;; [unrolled: 1-line block ×3, first 2 shown]
	s_nop 0
	global_load_dwordx4 v[0:3], v[121:122], off offset:1008
	global_load_dwordx4 v[8:11], v[121:122], off offset:1024
	;; [unrolled: 1-line block ×3, first 2 shown]
	v_lshlrev_b32_e32 v121, 4, v119
	v_lshlrev_b32_e32 v119, 4, v120
	s_mov_b32 s4, 0x3f5ff5aa
	s_mov_b32 s5, 0x3f3bfb3b
	;; [unrolled: 1-line block ×4, first 2 shown]
	s_waitcnt vmcnt(5) lgkmcnt(2)
	v_mul_f32_e32 v120, v31, v21
	v_mul_f32_e32 v122, v30, v21
	s_waitcnt lgkmcnt(1)
	v_mul_f32_e32 v123, v45, v23
	s_waitcnt vmcnt(4)
	v_mul_f32_e32 v126, v46, v17
	s_waitcnt lgkmcnt(0)
	v_mul_f32_e32 v128, v40, v19
	s_waitcnt vmcnt(3)
	v_mul_f32_e32 v129, v43, v13
	v_mul_f32_e32 v131, v88, v15
	;; [unrolled: 1-line block ×7, first 2 shown]
	v_fma_f32 v30, v30, v20, -v120
	v_fmac_f32_e32 v122, v31, v20
	v_fma_f32 v31, v44, v22, -v123
	v_fmac_f32_e32 v126, v47, v16
	v_fmac_f32_e32 v128, v41, v18
	v_fma_f32 v41, v42, v12, -v129
	v_fma_f32 v42, v87, v14, -v131
	s_waitcnt vmcnt(2)
	v_mul_f32_e32 v123, v32, v3
	s_waitcnt vmcnt(1)
	v_mul_f32_e32 v47, v37, v11
	;; [unrolled: 2-line block ×3, first 2 shown]
	v_fmac_f32_e32 v124, v45, v22
	v_fma_f32 v44, v46, v16, -v125
	v_fma_f32 v40, v40, v18, -v127
	v_fmac_f32_e32 v130, v43, v12
	v_fmac_f32_e32 v132, v88, v14
	v_mul_f32_e32 v43, v27, v1
	v_mul_f32_e32 v120, v26, v1
	;; [unrolled: 1-line block ×6, first 2 shown]
	v_fmac_f32_e32 v123, v33, v2
	v_fma_f32 v33, v36, v10, -v47
	v_fmac_f32_e32 v129, v39, v4
	v_add_f32_e32 v36, v30, v42
	v_add_f32_e32 v39, v31, v41
	v_mul_f32_e32 v125, v34, v9
	v_mul_f32_e32 v88, v86, v7
	v_fma_f32 v26, v26, v0, -v43
	v_fmac_f32_e32 v120, v27, v0
	v_fma_f32 v27, v32, v2, -v45
	v_fma_f32 v32, v34, v8, -v46
	v_fmac_f32_e32 v127, v37, v10
	v_add_f32_e32 v37, v122, v132
	v_sub_f32_e32 v30, v30, v42
	v_add_f32_e32 v42, v124, v130
	v_sub_f32_e32 v31, v31, v41
	;; [unrolled: 2-line block ×3, first 2 shown]
	v_add_f32_e32 v46, v39, v36
	v_mul_f32_e32 v131, v85, v7
	v_fmac_f32_e32 v125, v35, v8
	v_fma_f32 v34, v38, v4, -v87
	v_fma_f32 v35, v85, v6, -v88
	v_sub_f32_e32 v41, v124, v130
	v_add_f32_e32 v45, v126, v128
	v_sub_f32_e32 v44, v128, v126
	v_add_f32_e32 v47, v42, v37
	v_sub_f32_e32 v85, v39, v36
	v_sub_f32_e32 v87, v36, v43
	;; [unrolled: 1-line block ×3, first 2 shown]
	v_add_f32_e32 v36, v40, v31
	v_add_f32_e32 v43, v43, v46
	v_fmac_f32_e32 v131, v86, v6
	v_sub_f32_e32 v38, v122, v132
	v_sub_f32_e32 v86, v42, v37
	;; [unrolled: 1-line block ×4, first 2 shown]
	v_add_f32_e32 v37, v44, v41
	v_sub_f32_e32 v122, v40, v31
	v_sub_f32_e32 v40, v30, v40
	v_sub_f32_e32 v31, v31, v30
	v_add_f32_e32 v45, v45, v47
	v_add_f32_e32 v30, v36, v30
	v_add_f32_e32 v36, v28, v43
	v_sub_f32_e32 v124, v44, v41
	v_sub_f32_e32 v44, v38, v44
	;; [unrolled: 1-line block ×3, first 2 shown]
	v_add_f32_e32 v38, v37, v38
	v_add_f32_e32 v37, v29, v45
	v_mov_b32_e32 v126, v36
	v_mul_f32_e32 v28, 0x3f4a47b2, v87
	v_mul_f32_e32 v29, 0x3f4a47b2, v88
	;; [unrolled: 1-line block ×6, first 2 shown]
	v_fmac_f32_e32 v126, 0xbf955555, v43
	v_mov_b32_e32 v43, v37
	v_mul_f32_e32 v122, 0x3f5ff5aa, v31
	v_mul_f32_e32 v124, 0x3f5ff5aa, v41
	v_fmac_f32_e32 v43, 0xbf955555, v45
	v_fma_f32 v45, v85, s5, -v46
	v_fma_f32 v46, v86, s5, -v47
	;; [unrolled: 1-line block ×3, first 2 shown]
	v_fmac_f32_e32 v28, 0x3d64c772, v39
	v_fma_f32 v31, v31, s4, -v88
	v_fma_f32 v85, v41, s4, -v87
	v_fmac_f32_e32 v87, 0x3eae86e6, v44
	v_fma_f32 v39, v86, s6, -v29
	v_fmac_f32_e32 v29, 0x3d64c772, v42
	v_fmac_f32_e32 v88, 0x3eae86e6, v40
	v_fma_f32 v86, v40, s7, -v122
	v_fma_f32 v122, v44, s7, -v124
	v_add_f32_e32 v28, v28, v126
	v_add_f32_e32 v44, v45, v126
	v_add_f32_e32 v45, v46, v43
	v_fmac_f32_e32 v87, 0x3ee1c552, v38
	v_fmac_f32_e32 v31, 0x3ee1c552, v30
	v_add_f32_e32 v29, v29, v43
	v_add_f32_e32 v46, v47, v126
	;; [unrolled: 1-line block ×3, first 2 shown]
	v_fmac_f32_e32 v88, 0x3ee1c552, v30
	v_fmac_f32_e32 v85, 0x3ee1c552, v38
	;; [unrolled: 1-line block ×3, first 2 shown]
	v_add_f32_e32 v38, v87, v28
	v_add_f32_e32 v43, v31, v45
	v_sub_f32_e32 v45, v45, v31
	v_sub_f32_e32 v87, v28, v87
	v_add_f32_e32 v28, v26, v35
	v_add_f32_e32 v31, v27, v34
	v_fmac_f32_e32 v86, 0x3ee1c552, v30
	v_sub_f32_e32 v39, v29, v88
	v_sub_f32_e32 v42, v44, v85
	v_add_f32_e32 v44, v85, v44
	v_add_f32_e32 v88, v88, v29
	v_add_f32_e32 v29, v120, v131
	v_sub_f32_e32 v26, v26, v35
	v_sub_f32_e32 v30, v120, v131
	v_add_f32_e32 v35, v123, v129
	v_add_f32_e32 v85, v32, v33
	;; [unrolled: 1-line block ×4, first 2 shown]
	v_sub_f32_e32 v41, v47, v86
	v_sub_f32_e32 v46, v46, v122
	v_add_f32_e32 v47, v86, v47
	v_sub_f32_e32 v27, v27, v34
	v_sub_f32_e32 v34, v123, v129
	v_add_f32_e32 v86, v125, v127
	v_add_f32_e32 v122, v35, v29
	v_sub_f32_e32 v123, v31, v28
	v_sub_f32_e32 v28, v28, v85
	v_sub_f32_e32 v31, v85, v31
	v_add_f32_e32 v85, v85, v120
	v_sub_f32_e32 v32, v33, v32
	v_sub_f32_e32 v33, v127, v125
	;; [unrolled: 1-line block ×5, first 2 shown]
	v_add_f32_e32 v86, v86, v122
	v_add_f32_e32 v24, v24, v85
	;; [unrolled: 1-line block ×4, first 2 shown]
	v_sub_f32_e32 v127, v32, v27
	v_sub_f32_e32 v128, v33, v34
	;; [unrolled: 1-line block ×4, first 2 shown]
	v_add_f32_e32 v25, v25, v86
	v_mov_b32_e32 v129, v24
	v_sub_f32_e32 v32, v26, v32
	v_sub_f32_e32 v33, v30, v33
	v_add_f32_e32 v26, v125, v26
	v_add_f32_e32 v30, v126, v30
	v_mul_f32_e32 v28, 0x3f4a47b2, v28
	v_mul_f32_e32 v29, 0x3f4a47b2, v29
	;; [unrolled: 1-line block ×8, first 2 shown]
	v_fmac_f32_e32 v129, 0xbf955555, v85
	v_mov_b32_e32 v85, v25
	v_fmac_f32_e32 v85, 0xbf955555, v86
	v_fma_f32 v86, v123, s5, -v120
	v_fma_f32 v120, v124, s5, -v122
	;; [unrolled: 1-line block ×3, first 2 shown]
	v_fmac_f32_e32 v28, 0x3d64c772, v31
	v_fma_f32 v31, v124, s6, -v29
	v_fmac_f32_e32 v29, 0x3d64c772, v35
	v_fma_f32 v35, v27, s4, -v125
	;; [unrolled: 2-line block ×4, first 2 shown]
	v_fma_f32 v124, v33, s7, -v128
	v_add_f32_e32 v127, v28, v129
	v_add_f32_e32 v128, v29, v85
	;; [unrolled: 1-line block ×6, first 2 shown]
	v_fmac_f32_e32 v125, 0x3ee1c552, v26
	v_fmac_f32_e32 v126, 0x3ee1c552, v30
	;; [unrolled: 1-line block ×6, first 2 shown]
	v_add_f32_e32 v26, v126, v127
	v_sub_f32_e32 v27, v128, v125
	v_add_f32_e32 v28, v124, v86
	v_sub_f32_e32 v29, v85, v123
	v_sub_f32_e32 v30, v32, v34
	v_add_f32_e32 v31, v35, v33
	v_add_f32_e32 v32, v34, v32
	v_sub_f32_e32 v33, v33, v35
	v_sub_f32_e32 v34, v86, v124
	v_add_f32_e32 v35, v123, v85
	v_sub_f32_e32 v85, v127, v126
	v_add_f32_e32 v86, v125, v128
	ds_write2st64_b64 v89, v[36:37], v[38:39] offset1:2
	ds_write2st64_b64 v89, v[40:41], v[42:43] offset0:4 offset1:6
	ds_write2st64_b64 v89, v[44:45], v[46:47] offset0:8 offset1:10
	ds_write_b64 v89, v[87:88] offset:6144
	s_and_saveexec_b64 s[4:5], s[0:1]
	s_cbranch_execz .LBB0_5
; %bb.4:
	ds_write2_b64 v89, v[24:25], v[26:27] offset0:112 offset1:240
	v_add_u32_e32 v24, 0x180, v89
	ds_write2st64_b64 v24, v[28:29], v[30:31] offset0:5 offset1:7
	ds_write2st64_b64 v24, v[32:33], v[34:35] offset0:9 offset1:11
	ds_write_b64 v89, v[85:86] offset:7040
.LBB0_5:
	s_or_b64 exec, exec, s[4:5]
	v_lshlrev_b32_e32 v24, 3, v90
	v_mov_b32_e32 v25, s13
	v_add_co_u32_e32 v38, vcc, s12, v24
	v_addc_co_u32_e32 v39, vcc, 0, v25, vcc
	v_add_co_u32_e32 v24, vcc, 0x1c00, v38
	v_addc_co_u32_e32 v25, vcc, 0, v39, vcc
	;; [unrolled: 2-line block ×3, first 2 shown]
	s_waitcnt lgkmcnt(0)
	s_barrier
	global_load_dwordx2 v[44:45], v[24:25], off offset:896
	global_load_dwordx2 v[40:41], v[36:37], off offset:3072
	;; [unrolled: 1-line block ×3, first 2 shown]
	s_movk_i32 s4, 0x2000
	v_add_co_u32_e32 v36, vcc, s4, v38
	v_addc_co_u32_e32 v37, vcc, 0, v39, vcc
	s_movk_i32 s4, 0x3000
	global_load_dwordx2 v[122:123], v[36:37], off offset:3456
	global_load_dwordx2 v[124:125], v[24:25], off offset:1792
	v_add_co_u32_e32 v36, vcc, s4, v38
	v_addc_co_u32_e32 v37, vcc, 0, v39, vcc
	global_load_dwordx2 v[126:127], v[36:37], off offset:256
	global_load_dwordx2 v[128:129], v[24:25], off offset:2688
	;; [unrolled: 1-line block ×3, first 2 shown]
	ds_read2_b64 v[36:39], v89 offset1:112
	v_add_u32_e32 v134, 0xc00, v89
	v_add_u32_e32 v135, 0x400, v89
	;; [unrolled: 1-line block ×5, first 2 shown]
	s_waitcnt vmcnt(7) lgkmcnt(0)
	v_mul_f32_e32 v24, v39, v45
	s_waitcnt vmcnt(6)
	v_mul_f32_e32 v43, v37, v41
	v_mul_f32_e32 v42, v36, v41
	v_fma_f32 v41, v36, v40, -v43
	v_fmac_f32_e32 v42, v37, v40
	v_mul_f32_e32 v25, v38, v45
	ds_write_b64 v89, v[41:42]
	ds_read2_b64 v[40:43], v134 offset0:64 offset1:176
	v_fma_f32 v24, v38, v44, -v24
	v_fmac_f32_e32 v25, v39, v44
	ds_read2_b64 v[36:39], v135 offset0:96 offset1:208
	ds_read2_b64 v[44:47], v136 offset0:32 offset1:144
	s_waitcnt vmcnt(5) lgkmcnt(2)
	v_mul_f32_e32 v137, v41, v88
	v_mul_f32_e32 v132, v40, v88
	s_waitcnt vmcnt(4)
	v_mul_f32_e32 v138, v43, v123
	v_mul_f32_e32 v88, v42, v123
	s_waitcnt vmcnt(3) lgkmcnt(1)
	v_mul_f32_e32 v139, v37, v125
	v_mul_f32_e32 v123, v36, v125
	s_waitcnt vmcnt(2) lgkmcnt(0)
	v_mul_f32_e32 v140, v45, v127
	v_mul_f32_e32 v125, v44, v127
	s_waitcnt vmcnt(1)
	v_mul_f32_e32 v141, v39, v129
	v_mul_f32_e32 v127, v38, v129
	s_waitcnt vmcnt(0)
	v_mul_f32_e32 v142, v47, v131
	v_mul_f32_e32 v129, v46, v131
	v_fma_f32 v131, v40, v87, -v137
	v_fmac_f32_e32 v132, v41, v87
	v_fma_f32 v87, v42, v122, -v138
	v_fmac_f32_e32 v88, v43, v122
	;; [unrolled: 2-line block ×6, first 2 shown]
	ds_write2_b64 v89, v[24:25], v[122:123] offset0:112 offset1:224
	ds_write2_b64 v120, v[87:88], v[124:125] offset0:48 offset1:160
	;; [unrolled: 1-line block ×3, first 2 shown]
	ds_write_b64 v89, v[128:129] offset:6272
	s_waitcnt lgkmcnt(0)
	s_barrier
	ds_read2_b64 v[36:39], v89 offset1:112
	ds_read2_b64 v[40:43], v134 offset0:64 offset1:176
	ds_read2_b64 v[44:47], v135 offset0:96 offset1:208
	;; [unrolled: 1-line block ×3, first 2 shown]
	s_waitcnt lgkmcnt(0)
	s_barrier
	v_sub_f32_e32 v128, v36, v40
	v_sub_f32_e32 v129, v37, v41
	;; [unrolled: 1-line block ×6, first 2 shown]
	v_fma_f32 v130, v44, 2.0, -v132
	v_fma_f32 v131, v45, 2.0, -v133
	v_sub_f32_e32 v44, v46, v124
	v_sub_f32_e32 v45, v47, v125
	v_fma_f32 v126, v36, 2.0, -v128
	v_fma_f32 v127, v37, 2.0, -v129
	;; [unrolled: 1-line block ×6, first 2 shown]
	ds_write_b128 v91, v[126:129]
	ds_write_b128 v92, v[38:41]
	ds_write_b128 v121, v[130:133]
	ds_write_b128 v119, v[42:45]
	s_waitcnt lgkmcnt(0)
	s_barrier
	ds_read2_b64 v[36:39], v134 offset0:64 offset1:176
	ds_read2_b64 v[40:43], v89 offset1:112
	ds_read2_b64 v[44:47], v135 offset0:96 offset1:208
	ds_read2_b64 v[119:122], v136 offset0:32 offset1:144
	s_waitcnt lgkmcnt(0)
	v_mul_f32_e32 v24, v66, v37
	v_fmac_f32_e32 v24, v65, v36
	v_mul_f32_e32 v25, v66, v36
	v_mul_f32_e32 v36, v66, v38
	;; [unrolled: 1-line block ×3, first 2 shown]
	v_fma_f32 v39, v65, v39, -v36
	v_mul_f32_e32 v36, v66, v119
	v_fma_f32 v25, v65, v37, -v25
	v_fmac_f32_e32 v87, v65, v38
	v_mul_f32_e32 v88, v66, v120
	v_fma_f32 v91, v65, v120, -v36
	v_mul_f32_e32 v92, v66, v122
	v_mul_f32_e32 v36, v66, v121
	v_fmac_f32_e32 v88, v65, v119
	v_fmac_f32_e32 v92, v65, v121
	v_fma_f32 v66, v65, v122, -v36
	v_sub_f32_e32 v24, v40, v24
	v_sub_f32_e32 v25, v41, v25
	;; [unrolled: 1-line block ×4, first 2 shown]
	v_fma_f32 v36, v40, 2.0, -v24
	v_fma_f32 v37, v41, 2.0, -v25
	;; [unrolled: 1-line block ×4, first 2 shown]
	v_sub_f32_e32 v42, v44, v88
	v_sub_f32_e32 v43, v45, v91
	;; [unrolled: 1-line block ×4, first 2 shown]
	v_fma_f32 v44, v44, 2.0, -v42
	v_fma_f32 v45, v45, 2.0, -v43
	;; [unrolled: 1-line block ×4, first 2 shown]
	s_barrier
	ds_write2_b64 v93, v[36:37], v[24:25] offset1:2
	ds_write2_b64 v94, v[40:41], v[38:39] offset1:2
	;; [unrolled: 1-line block ×4, first 2 shown]
	s_waitcnt lgkmcnt(0)
	s_barrier
	ds_read2_b64 v[36:39], v134 offset0:64 offset1:176
	ds_read2_b64 v[40:43], v89 offset1:112
	ds_read2_b64 v[44:47], v135 offset0:96 offset1:208
	ds_read2_b64 v[91:94], v136 offset0:32 offset1:144
	s_waitcnt lgkmcnt(0)
	v_mul_f32_e32 v24, v68, v37
	v_fmac_f32_e32 v24, v67, v36
	v_mul_f32_e32 v25, v68, v36
	v_mul_f32_e32 v36, v68, v38
	;; [unrolled: 1-line block ×3, first 2 shown]
	v_fma_f32 v39, v67, v39, -v36
	v_mul_f32_e32 v36, v68, v91
	v_fma_f32 v25, v67, v37, -v25
	v_fmac_f32_e32 v65, v67, v38
	v_mul_f32_e32 v66, v68, v92
	v_fma_f32 v87, v67, v92, -v36
	v_mul_f32_e32 v88, v68, v94
	v_mul_f32_e32 v36, v68, v93
	v_fmac_f32_e32 v66, v67, v91
	v_fmac_f32_e32 v88, v67, v93
	v_fma_f32 v67, v67, v94, -v36
	v_sub_f32_e32 v24, v40, v24
	v_sub_f32_e32 v25, v41, v25
	v_sub_f32_e32 v38, v42, v65
	v_sub_f32_e32 v39, v43, v39
	v_fma_f32 v36, v40, 2.0, -v24
	v_fma_f32 v37, v41, 2.0, -v25
	v_fma_f32 v40, v42, 2.0, -v38
	v_fma_f32 v41, v43, 2.0, -v39
	v_sub_f32_e32 v42, v44, v66
	v_sub_f32_e32 v43, v45, v87
	v_sub_f32_e32 v65, v46, v88
	v_sub_f32_e32 v66, v47, v67
	v_fma_f32 v44, v44, 2.0, -v42
	v_fma_f32 v45, v45, 2.0, -v43
	v_fma_f32 v46, v46, 2.0, -v65
	v_fma_f32 v47, v47, 2.0, -v66
	s_barrier
	ds_write2_b64 v97, v[36:37], v[24:25] offset1:4
	ds_write2_b64 v98, v[40:41], v[38:39] offset1:4
	ds_write2_b64 v99, v[44:45], v[42:43] offset1:4
	ds_write2_b64 v100, v[46:47], v[65:66] offset1:4
	s_waitcnt lgkmcnt(0)
	s_barrier
	ds_read2_b64 v[36:39], v134 offset0:64 offset1:176
	ds_read2_b64 v[40:43], v89 offset1:112
	ds_read2_b64 v[44:47], v135 offset0:96 offset1:208
	ds_read2_b64 v[65:68], v136 offset0:32 offset1:144
	s_waitcnt lgkmcnt(0)
	v_mul_f32_e32 v24, v70, v37
	v_fmac_f32_e32 v24, v69, v36
	v_mul_f32_e32 v25, v70, v36
	v_mul_f32_e32 v36, v70, v38
	v_mul_f32_e32 v87, v70, v39
	v_fma_f32 v39, v69, v39, -v36
	v_mul_f32_e32 v88, v70, v66
	v_mul_f32_e32 v36, v70, v65
	v_fma_f32 v25, v69, v37, -v25
	v_fmac_f32_e32 v87, v69, v38
	v_fmac_f32_e32 v88, v69, v65
	v_fma_f32 v65, v69, v66, -v36
	v_mul_f32_e32 v66, v70, v68
	v_mul_f32_e32 v36, v70, v67
	v_fmac_f32_e32 v66, v69, v67
	v_fma_f32 v67, v69, v68, -v36
	v_sub_f32_e32 v24, v40, v24
	v_sub_f32_e32 v25, v41, v25
	v_sub_f32_e32 v38, v42, v87
	v_sub_f32_e32 v39, v43, v39
	v_fma_f32 v36, v40, 2.0, -v24
	v_fma_f32 v37, v41, 2.0, -v25
	v_fma_f32 v40, v42, 2.0, -v38
	v_fma_f32 v41, v43, 2.0, -v39
	v_sub_f32_e32 v42, v44, v88
	v_sub_f32_e32 v43, v45, v65
	v_sub_f32_e32 v65, v46, v66
	v_sub_f32_e32 v66, v47, v67
	v_fma_f32 v44, v44, 2.0, -v42
	v_fma_f32 v45, v45, 2.0, -v43
	v_fma_f32 v46, v46, 2.0, -v65
	v_fma_f32 v47, v47, 2.0, -v66
	s_barrier
	ds_write2_b64 v104, v[36:37], v[24:25] offset1:8
	ds_write2_b64 v103, v[40:41], v[38:39] offset1:8
	ds_write2_b64 v102, v[44:45], v[42:43] offset1:8
	ds_write2_b64 v101, v[46:47], v[65:66] offset1:8
	s_waitcnt lgkmcnt(0)
	s_barrier
	ds_read2_b64 v[36:39], v134 offset0:64 offset1:176
	ds_read2_b64 v[40:43], v89 offset1:112
	ds_read2_b64 v[44:47], v135 offset0:96 offset1:208
	ds_read2_b64 v[65:68], v136 offset0:32 offset1:144
	s_waitcnt lgkmcnt(0)
	v_mul_f32_e32 v24, v72, v37
	v_fmac_f32_e32 v24, v71, v36
	v_mul_f32_e32 v25, v72, v36
	v_mul_f32_e32 v36, v72, v38
	v_mul_f32_e32 v69, v72, v39
	v_fma_f32 v39, v71, v39, -v36
	v_mul_f32_e32 v70, v72, v66
	v_mul_f32_e32 v36, v72, v65
	v_fma_f32 v25, v71, v37, -v25
	v_fmac_f32_e32 v69, v71, v38
	v_fmac_f32_e32 v70, v71, v65
	v_fma_f32 v65, v71, v66, -v36
	v_mul_f32_e32 v66, v72, v68
	v_mul_f32_e32 v36, v72, v67
	;; [unrolled: 44-line block ×3, first 2 shown]
	v_fmac_f32_e32 v66, v73, v67
	v_fma_f32 v67, v73, v68, -v36
	v_sub_f32_e32 v24, v40, v24
	v_sub_f32_e32 v25, v41, v25
	;; [unrolled: 1-line block ×4, first 2 shown]
	v_fma_f32 v36, v40, 2.0, -v24
	v_fma_f32 v37, v41, 2.0, -v25
	;; [unrolled: 1-line block ×4, first 2 shown]
	v_sub_f32_e32 v42, v44, v70
	v_sub_f32_e32 v43, v45, v65
	;; [unrolled: 1-line block ×4, first 2 shown]
	v_fma_f32 v44, v44, 2.0, -v42
	v_fma_f32 v45, v45, 2.0, -v43
	v_fma_f32 v46, v46, 2.0, -v65
	v_fma_f32 v47, v47, 2.0, -v66
	s_barrier
	ds_write2_b64 v114, v[36:37], v[24:25] offset1:32
	ds_write2_b64 v113, v[40:41], v[38:39] offset1:32
	;; [unrolled: 1-line block ×4, first 2 shown]
	s_waitcnt lgkmcnt(0)
	s_barrier
	ds_read2_b64 v[36:39], v134 offset0:64 offset1:176
	ds_read2_b64 v[40:43], v89 offset1:112
	ds_read2_b64 v[44:47], v135 offset0:96 offset1:208
	ds_read2_b64 v[65:68], v136 offset0:32 offset1:144
	s_waitcnt lgkmcnt(0)
	v_mul_f32_e32 v24, v84, v37
	v_fmac_f32_e32 v24, v83, v36
	v_mul_f32_e32 v25, v84, v36
	v_mul_f32_e32 v36, v82, v38
	v_fma_f32 v70, v81, v39, -v36
	v_mul_f32_e32 v36, v80, v65
	v_fma_f32 v25, v83, v37, -v25
	v_mul_f32_e32 v69, v82, v39
	v_mul_f32_e32 v71, v80, v66
	v_fma_f32 v66, v79, v66, -v36
	v_mul_f32_e32 v72, v78, v68
	v_mul_f32_e32 v36, v78, v67
	v_fmac_f32_e32 v69, v81, v38
	v_fmac_f32_e32 v71, v79, v65
	;; [unrolled: 1-line block ×3, first 2 shown]
	v_fma_f32 v67, v77, v68, -v36
	v_sub_f32_e32 v36, v40, v24
	v_sub_f32_e32 v37, v41, v25
	v_fma_f32 v38, v40, 2.0, -v36
	v_fma_f32 v39, v41, 2.0, -v37
	v_sub_f32_e32 v40, v42, v69
	v_sub_f32_e32 v41, v43, v70
	;; [unrolled: 1-line block ×6, first 2 shown]
	v_fma_f32 v42, v42, 2.0, -v40
	v_fma_f32 v43, v43, 2.0, -v41
	;; [unrolled: 1-line block ×6, first 2 shown]
	s_barrier
	ds_write2st64_b64 v118, v[38:39], v[36:37] offset1:1
	ds_write2st64_b64 v117, v[42:43], v[40:41] offset1:1
	;; [unrolled: 1-line block ×4, first 2 shown]
	s_waitcnt lgkmcnt(0)
	s_barrier
	ds_read2st64_b64 v[36:39], v89 offset1:2
	ds_read2st64_b64 v[44:47], v89 offset0:4 offset1:6
	ds_read2st64_b64 v[40:43], v89 offset0:8 offset1:10
	ds_read_b64 v[65:66], v89 offset:6144
	s_and_saveexec_b64 s[4:5], s[0:1]
	s_cbranch_execz .LBB0_7
; %bb.6:
	v_add_u32_e32 v32, 0x180, v89
	ds_read2_b64 v[24:27], v89 offset0:112 offset1:240
	ds_read2st64_b64 v[28:31], v32 offset0:5 offset1:7
	ds_read2st64_b64 v[32:35], v32 offset0:9 offset1:11
	ds_read_b64 v[85:86], v89 offset:7040
.LBB0_7:
	s_or_b64 exec, exec, s[4:5]
	s_waitcnt lgkmcnt(3)
	v_mul_f32_e32 v67, v21, v39
	v_mul_f32_e32 v21, v21, v38
	v_fmac_f32_e32 v67, v20, v38
	v_fma_f32 v20, v20, v39, -v21
	s_waitcnt lgkmcnt(2)
	v_mul_f32_e32 v21, v23, v45
	v_mul_f32_e32 v23, v23, v44
	v_fmac_f32_e32 v21, v22, v44
	v_fma_f32 v22, v22, v45, -v23
	v_mul_f32_e32 v23, v17, v47
	v_mul_f32_e32 v17, v17, v46
	v_fmac_f32_e32 v23, v16, v46
	v_fma_f32 v16, v16, v47, -v17
	s_waitcnt lgkmcnt(1)
	v_mul_f32_e32 v17, v19, v41
	v_mul_f32_e32 v19, v19, v40
	v_fmac_f32_e32 v17, v18, v40
	v_fma_f32 v18, v18, v41, -v19
	;; [unrolled: 9-line block ×3, first 2 shown]
	v_add_f32_e32 v15, v67, v13
	v_add_f32_e32 v38, v20, v14
	v_sub_f32_e32 v14, v20, v14
	v_add_f32_e32 v20, v21, v19
	v_add_f32_e32 v39, v22, v12
	v_sub_f32_e32 v19, v21, v19
	v_sub_f32_e32 v12, v22, v12
	v_add_f32_e32 v21, v23, v17
	v_add_f32_e32 v22, v16, v18
	v_sub_f32_e32 v16, v18, v16
	v_add_f32_e32 v18, v20, v15
	v_sub_f32_e32 v17, v17, v23
	v_add_f32_e32 v23, v39, v38
	v_add_f32_e32 v18, v21, v18
	v_sub_f32_e32 v13, v67, v13
	v_sub_f32_e32 v40, v20, v15
	;; [unrolled: 1-line block ×4, first 2 shown]
	v_add_f32_e32 v42, v17, v19
	v_add_f32_e32 v43, v16, v12
	v_sub_f32_e32 v45, v16, v12
	v_sub_f32_e32 v46, v12, v14
	v_add_f32_e32 v21, v22, v23
	v_add_f32_e32 v12, v36, v18
	v_sub_f32_e32 v41, v39, v38
	v_sub_f32_e32 v38, v38, v22
	;; [unrolled: 1-line block ×6, first 2 shown]
	v_add_f32_e32 v22, v42, v13
	v_add_f32_e32 v13, v37, v21
	v_mul_f32_e32 v42, 0x3f08b237, v45
	v_mov_b32_e32 v45, v12
	v_sub_f32_e32 v16, v14, v16
	v_mul_f32_e32 v15, 0x3f4a47b2, v15
	v_mul_f32_e32 v23, 0x3f4a47b2, v38
	;; [unrolled: 1-line block ×5, first 2 shown]
	s_mov_b32 s6, 0xbf5ff5aa
	v_fmac_f32_e32 v45, 0xbf955555, v18
	v_mov_b32_e32 v18, v13
	s_mov_b32 s7, 0x3f3bfb3b
	s_mov_b32 s12, 0xbf3bfb3b
	v_add_f32_e32 v14, v43, v14
	v_mul_f32_e32 v43, 0xbf5ff5aa, v19
	v_mul_f32_e32 v44, 0xbf5ff5aa, v46
	v_fmac_f32_e32 v18, 0xbf955555, v21
	v_fma_f32 v21, v40, s7, -v36
	v_fma_f32 v36, v41, s7, -v37
	;; [unrolled: 1-line block ×3, first 2 shown]
	v_fmac_f32_e32 v15, 0x3d64c772, v20
	v_fma_f32 v20, v41, s12, -v23
	v_fmac_f32_e32 v23, 0x3d64c772, v39
	v_fma_f32 v39, v19, s6, -v38
	;; [unrolled: 2-line block ×3, first 2 shown]
	v_fmac_f32_e32 v42, 0xbeae86e6, v16
	s_mov_b32 s13, 0x3eae86e6
	v_fma_f32 v41, v17, s13, -v43
	v_fma_f32 v43, v16, s13, -v44
	v_add_f32_e32 v44, v15, v45
	v_add_f32_e32 v46, v23, v18
	v_fmac_f32_e32 v38, 0xbee1c552, v22
	v_fmac_f32_e32 v42, 0xbee1c552, v14
	v_add_f32_e32 v21, v21, v45
	v_add_f32_e32 v23, v36, v18
	;; [unrolled: 1-line block ×4, first 2 shown]
	v_fmac_f32_e32 v39, 0xbee1c552, v22
	v_fmac_f32_e32 v40, 0xbee1c552, v14
	;; [unrolled: 1-line block ×4, first 2 shown]
	v_add_f32_e32 v14, v42, v44
	v_sub_f32_e32 v15, v46, v38
	v_add_f32_e32 v16, v43, v36
	v_sub_f32_e32 v17, v37, v41
	v_sub_f32_e32 v18, v21, v40
	v_add_f32_e32 v19, v39, v23
	v_add_f32_e32 v20, v40, v21
	v_sub_f32_e32 v21, v23, v39
	v_sub_f32_e32 v22, v36, v43
	v_add_f32_e32 v23, v41, v37
	v_sub_f32_e32 v36, v44, v42
	v_add_f32_e32 v37, v38, v46
	ds_write2st64_b64 v89, v[12:13], v[14:15] offset1:2
	ds_write2st64_b64 v89, v[16:17], v[18:19] offset0:4 offset1:6
	ds_write2st64_b64 v89, v[20:21], v[22:23] offset0:8 offset1:10
	ds_write_b64 v89, v[36:37] offset:6144
	s_and_saveexec_b64 s[4:5], s[0:1]
	s_cbranch_execz .LBB0_9
; %bb.8:
	v_mul_f32_e32 v12, v1, v27
	v_mul_f32_e32 v13, v7, v86
	;; [unrolled: 1-line block ×4, first 2 shown]
	v_fmac_f32_e32 v12, v0, v26
	v_fmac_f32_e32 v13, v6, v85
	v_mul_f32_e32 v16, v9, v31
	v_fma_f32 v6, v6, v86, -v7
	v_fma_f32 v7, v0, v27, -v1
	v_mul_f32_e32 v0, v9, v30
	v_fmac_f32_e32 v16, v8, v30
	v_fma_f32 v8, v8, v31, -v0
	v_mul_f32_e32 v0, v11, v32
	v_fma_f32 v9, v10, v33, -v0
	v_add_f32_e32 v26, v6, v7
	v_add_f32_e32 v0, v8, v9
	v_mul_f32_e32 v15, v11, v33
	v_sub_f32_e32 v1, v26, v0
	v_fmac_f32_e32 v15, v10, v32
	v_mul_f32_e32 v20, v5, v35
	v_mul_f32_e32 v10, 0x3f4a47b2, v1
	;; [unrolled: 1-line block ×4, first 2 shown]
	v_fmac_f32_e32 v20, v4, v34
	v_fma_f32 v4, v4, v35, -v1
	v_mul_f32_e32 v1, v3, v28
	v_fmac_f32_e32 v19, v2, v28
	v_fma_f32 v2, v2, v29, -v1
	v_add_f32_e32 v5, v4, v2
	v_sub_f32_e32 v1, v0, v5
	v_mov_b32_e32 v3, v10
	v_mul_f32_e32 v11, 0x3d64c772, v1
	v_fmac_f32_e32 v3, 0x3d64c772, v1
	v_add_f32_e32 v1, v5, v26
	v_add_f32_e32 v0, v0, v1
	;; [unrolled: 1-line block ×3, first 2 shown]
	v_mov_b32_e32 v25, v1
	v_sub_f32_e32 v14, v12, v13
	v_fmac_f32_e32 v25, 0xbf955555, v0
	v_add_f32_e32 v12, v13, v12
	v_add_f32_e32 v0, v16, v15
	v_sub_f32_e32 v13, v12, v0
	v_sub_f32_e32 v17, v15, v16
	v_mul_f32_e32 v13, 0x3f4a47b2, v13
	v_add_f32_e32 v15, v20, v19
	v_sub_f32_e32 v21, v19, v20
	v_sub_f32_e32 v16, v0, v15
	v_mov_b32_e32 v20, v13
	v_mul_f32_e32 v19, 0x3d64c772, v16
	v_fmac_f32_e32 v20, 0x3d64c772, v16
	v_add_f32_e32 v16, v15, v12
	v_add_f32_e32 v16, v0, v16
	v_sub_f32_e32 v6, v7, v6
	v_sub_f32_e32 v7, v9, v8
	;; [unrolled: 1-line block ×4, first 2 shown]
	v_add_f32_e32 v0, v24, v16
	v_sub_f32_e32 v2, v7, v4
	v_sub_f32_e32 v18, v14, v17
	v_mul_f32_e32 v22, 0x3f08b237, v22
	v_add_f32_e32 v17, v17, v21
	v_mov_b32_e32 v24, v0
	v_sub_f32_e32 v8, v6, v7
	v_mul_f32_e32 v9, 0x3f08b237, v2
	v_add_f32_e32 v2, v7, v4
	v_sub_f32_e32 v7, v21, v14
	v_mov_b32_e32 v23, v22
	v_add_f32_e32 v17, v17, v14
	v_fmac_f32_e32 v24, 0xbf955555, v16
	v_add_f32_e32 v28, v2, v6
	v_mul_f32_e32 v14, 0xbf5ff5aa, v7
	v_sub_f32_e32 v6, v4, v6
	v_fmac_f32_e32 v23, 0xbeae86e6, v18
	v_add_f32_e32 v16, v20, v24
	v_mov_b32_e32 v20, v9
	v_fma_f32 v14, v18, s13, -v14
	v_sub_f32_e32 v18, v5, v26
	v_mul_f32_e32 v4, 0xbf5ff5aa, v6
	v_fmac_f32_e32 v20, 0xbeae86e6, v8
	v_sub_f32_e32 v12, v15, v12
	v_fma_f32 v15, v8, s13, -v4
	v_fma_f32 v8, v18, s7, -v11
	;; [unrolled: 1-line block ×3, first 2 shown]
	v_fmac_f32_e32 v23, 0xbee1c552, v17
	v_fmac_f32_e32 v14, 0xbee1c552, v17
	v_fma_f32 v5, v18, s12, -v10
	v_fma_f32 v13, v12, s12, -v13
	v_fmac_f32_e32 v11, 0xbee1c552, v17
	v_fma_f32 v17, v6, s6, -v9
	v_fma_f32 v6, v12, s7, -v19
	v_add_f32_e32 v27, v3, v25
	v_fmac_f32_e32 v20, 0xbee1c552, v28
	v_add_f32_e32 v10, v5, v25
	v_add_f32_e32 v13, v13, v24
	v_fmac_f32_e32 v15, 0xbee1c552, v28
	v_add_f32_e32 v8, v8, v25
	v_fmac_f32_e32 v17, 0xbee1c552, v28
	v_add_f32_e32 v12, v6, v24
	v_add_f32_e32 v5, v14, v10
	v_sub_f32_e32 v4, v13, v15
	v_sub_f32_e32 v7, v8, v11
	v_add_f32_e32 v6, v17, v12
	v_add_f32_e32 v9, v11, v8
	v_sub_f32_e32 v8, v12, v17
	v_sub_f32_e32 v11, v10, v14
	v_add_f32_e32 v10, v15, v13
	v_sub_f32_e32 v13, v27, v23
	v_add_f32_e32 v12, v20, v16
	ds_write2_b64 v89, v[0:1], v[12:13] offset0:112 offset1:240
	v_add_u32_e32 v0, 0x180, v89
	v_add_f32_e32 v3, v23, v27
	v_sub_f32_e32 v2, v16, v20
	ds_write2st64_b64 v0, v[10:11], v[8:9] offset0:5 offset1:7
	ds_write2st64_b64 v0, v[6:7], v[4:5] offset0:9 offset1:11
	ds_write_b64 v89, v[2:3] offset:7040
.LBB0_9:
	s_or_b64 exec, exec, s[4:5]
	s_waitcnt lgkmcnt(0)
	s_barrier
	ds_read2_b64 v[0:3], v89 offset1:112
	v_mad_u64_u32 v[8:9], s[0:1], s10, v52, 0
	s_mov_b32 s0, 0x92492492
	s_mov_b32 s1, 0x3f524924
	s_waitcnt lgkmcnt(0)
	v_mul_f32_e32 v4, v64, v1
	v_fmac_f32_e32 v4, v63, v0
	v_cvt_f64_f32_e32 v[4:5], v4
	v_mul_f32_e32 v0, v64, v0
	v_fma_f32 v0, v63, v1, -v0
	v_cvt_f64_f32_e32 v[0:1], v0
	v_mul_f64 v[4:5], v[4:5], s[0:1]
	v_mad_u64_u32 v[10:11], s[4:5], s8, v90, 0
	v_mov_b32_e32 v6, v9
	v_mad_u64_u32 v[6:7], s[4:5], s11, v52, v[6:7]
	v_mul_f64 v[0:1], v[0:1], s[0:1]
	v_cvt_f32_f64_e32 v12, v[4:5]
	v_mov_b32_e32 v4, v11
	v_mad_u64_u32 v[14:15], s[4:5], s9, v90, v[4:5]
	v_add_u32_e32 v4, 0xc00, v89
	v_mov_b32_e32 v9, v6
	ds_read2_b64 v[4:7], v4 offset0:64 offset1:176
	v_cvt_f32_f64_e32 v13, v[0:1]
	v_lshlrev_b64 v[0:1], 3, v[8:9]
	v_mov_b32_e32 v11, v14
	v_mov_b32_e32 v14, s3
	s_waitcnt lgkmcnt(0)
	v_mul_f32_e32 v8, v62, v5
	v_fmac_f32_e32 v8, v61, v4
	v_mul_f32_e32 v4, v62, v4
	v_fma_f32 v4, v61, v5, -v4
	v_cvt_f64_f32_e32 v[8:9], v8
	v_cvt_f64_f32_e32 v[4:5], v4
	v_add_co_u32_e32 v15, vcc, s2, v0
	v_addc_co_u32_e32 v14, vcc, v14, v1, vcc
	v_mul_f64 v[0:1], v[8:9], s[0:1]
	v_mul_f64 v[4:5], v[4:5], s[0:1]
	v_lshlrev_b64 v[8:9], 3, v[10:11]
	s_mul_i32 s2, s9, 0xe00
	v_add_co_u32_e32 v8, vcc, v15, v8
	s_mul_hi_u32 s3, s8, 0xe00
	v_addc_co_u32_e32 v9, vcc, v14, v9, vcc
	v_cvt_f32_f64_e32 v0, v[0:1]
	v_cvt_f32_f64_e32 v1, v[4:5]
	v_mul_f32_e32 v4, v60, v3
	v_fmac_f32_e32 v4, v59, v2
	v_mul_f32_e32 v2, v60, v2
	v_fma_f32 v2, v59, v3, -v2
	v_cvt_f64_f32_e32 v[4:5], v4
	v_cvt_f64_f32_e32 v[2:3], v2
	s_add_i32 s2, s3, s2
	s_mul_i32 s3, s8, 0xe00
	v_mul_f64 v[4:5], v[4:5], s[0:1]
	v_mul_f64 v[2:3], v[2:3], s[0:1]
	global_store_dwordx2 v[8:9], v[12:13], off
	v_mov_b32_e32 v10, s2
	v_add_co_u32_e32 v8, vcc, s3, v8
	v_addc_co_u32_e32 v9, vcc, v9, v10, vcc
	global_store_dwordx2 v[8:9], v[0:1], off
	v_cvt_f32_f64_e32 v4, v[4:5]
	v_cvt_f32_f64_e32 v5, v[2:3]
	v_mul_f32_e32 v0, v58, v7
	v_mul_f32_e32 v2, v58, v6
	v_fmac_f32_e32 v0, v57, v6
	v_fma_f32 v2, v57, v7, -v2
	v_cvt_f64_f32_e32 v[0:1], v0
	v_cvt_f64_f32_e32 v[2:3], v2
	s_mul_hi_u32 s5, s8, 0xfffff580
	s_mul_i32 s4, s9, 0xfffff580
	v_mul_f64 v[6:7], v[0:1], s[0:1]
	v_mul_f64 v[10:11], v[2:3], s[0:1]
	v_add_u32_e32 v0, 0x400, v89
	ds_read2_b64 v[0:3], v0 offset0:96 offset1:208
	s_sub_i32 s5, s5, s8
	s_add_i32 s4, s5, s4
	s_mul_i32 s5, s8, 0xfffff580
	v_mov_b32_e32 v12, s4
	v_add_co_u32_e32 v8, vcc, s5, v8
	v_addc_co_u32_e32 v9, vcc, v9, v12, vcc
	global_store_dwordx2 v[8:9], v[4:5], off
	s_waitcnt lgkmcnt(0)
	v_mul_f32_e32 v4, v56, v1
	v_fmac_f32_e32 v4, v55, v0
	v_mul_f32_e32 v0, v56, v0
	v_cvt_f32_f64_e32 v13, v[10:11]
	v_cvt_f64_f32_e32 v[10:11], v4
	v_fma_f32 v0, v55, v1, -v0
	v_add_u32_e32 v4, 0x1400, v89
	v_cvt_f32_f64_e32 v12, v[6:7]
	v_cvt_f64_f32_e32 v[0:1], v0
	ds_read2_b64 v[4:7], v4 offset0:32 offset1:144
	v_mov_b32_e32 v14, s2
	v_add_co_u32_e32 v8, vcc, s3, v8
	v_addc_co_u32_e32 v9, vcc, v9, v14, vcc
	v_mul_f64 v[10:11], v[10:11], s[0:1]
	v_mul_f64 v[0:1], v[0:1], s[0:1]
	global_store_dwordx2 v[8:9], v[12:13], off
	s_waitcnt lgkmcnt(0)
	v_mul_f32_e32 v12, v54, v5
	v_fmac_f32_e32 v12, v53, v4
	v_mul_f32_e32 v4, v54, v4
	v_fma_f32 v4, v53, v5, -v4
	v_cvt_f64_f32_e32 v[12:13], v12
	v_cvt_f64_f32_e32 v[4:5], v4
	v_cvt_f32_f64_e32 v10, v[10:11]
	v_cvt_f32_f64_e32 v11, v[0:1]
	v_mul_f64 v[0:1], v[12:13], s[0:1]
	v_mul_f64 v[4:5], v[4:5], s[0:1]
	v_mov_b32_e32 v12, s4
	v_add_co_u32_e32 v8, vcc, s5, v8
	v_addc_co_u32_e32 v9, vcc, v9, v12, vcc
	global_store_dwordx2 v[8:9], v[10:11], off
	v_cvt_f32_f64_e32 v0, v[0:1]
	v_cvt_f32_f64_e32 v1, v[4:5]
	v_mul_f32_e32 v4, v51, v3
	v_fmac_f32_e32 v4, v50, v2
	v_mul_f32_e32 v2, v51, v2
	v_fma_f32 v2, v50, v3, -v2
	v_cvt_f64_f32_e32 v[4:5], v4
	v_cvt_f64_f32_e32 v[2:3], v2
	v_mov_b32_e32 v10, s2
	v_add_co_u32_e32 v8, vcc, s3, v8
	v_addc_co_u32_e32 v9, vcc, v9, v10, vcc
	global_store_dwordx2 v[8:9], v[0:1], off
	v_mul_f64 v[0:1], v[4:5], s[0:1]
	v_mul_f64 v[2:3], v[2:3], s[0:1]
	v_mul_f32_e32 v4, v49, v7
	v_fmac_f32_e32 v4, v48, v6
	v_mul_f32_e32 v6, v49, v6
	v_fma_f32 v6, v48, v7, -v6
	v_cvt_f64_f32_e32 v[4:5], v4
	v_cvt_f64_f32_e32 v[6:7], v6
	v_cvt_f32_f64_e32 v0, v[0:1]
	v_cvt_f32_f64_e32 v1, v[2:3]
	v_mul_f64 v[2:3], v[4:5], s[0:1]
	v_mul_f64 v[4:5], v[6:7], s[0:1]
	v_mov_b32_e32 v7, s4
	v_add_co_u32_e32 v6, vcc, s5, v8
	v_addc_co_u32_e32 v7, vcc, v9, v7, vcc
	global_store_dwordx2 v[6:7], v[0:1], off
	v_cvt_f32_f64_e32 v0, v[2:3]
	v_cvt_f32_f64_e32 v1, v[4:5]
	v_mov_b32_e32 v3, s2
	v_add_co_u32_e32 v2, vcc, s3, v6
	v_addc_co_u32_e32 v3, vcc, v7, v3, vcc
	global_store_dwordx2 v[2:3], v[0:1], off
.LBB0_10:
	s_endpgm
	.section	.rodata,"a",@progbits
	.p2align	6, 0x0
	.amdhsa_kernel bluestein_single_fwd_len896_dim1_sp_op_CI_CI
		.amdhsa_group_segment_fixed_size 7168
		.amdhsa_private_segment_fixed_size 0
		.amdhsa_kernarg_size 104
		.amdhsa_user_sgpr_count 6
		.amdhsa_user_sgpr_private_segment_buffer 1
		.amdhsa_user_sgpr_dispatch_ptr 0
		.amdhsa_user_sgpr_queue_ptr 0
		.amdhsa_user_sgpr_kernarg_segment_ptr 1
		.amdhsa_user_sgpr_dispatch_id 0
		.amdhsa_user_sgpr_flat_scratch_init 0
		.amdhsa_user_sgpr_private_segment_size 0
		.amdhsa_uses_dynamic_stack 0
		.amdhsa_system_sgpr_private_segment_wavefront_offset 0
		.amdhsa_system_sgpr_workgroup_id_x 1
		.amdhsa_system_sgpr_workgroup_id_y 0
		.amdhsa_system_sgpr_workgroup_id_z 0
		.amdhsa_system_sgpr_workgroup_info 0
		.amdhsa_system_vgpr_workitem_id 0
		.amdhsa_next_free_vgpr 143
		.amdhsa_next_free_sgpr 20
		.amdhsa_reserve_vcc 1
		.amdhsa_reserve_flat_scratch 0
		.amdhsa_float_round_mode_32 0
		.amdhsa_float_round_mode_16_64 0
		.amdhsa_float_denorm_mode_32 3
		.amdhsa_float_denorm_mode_16_64 3
		.amdhsa_dx10_clamp 1
		.amdhsa_ieee_mode 1
		.amdhsa_fp16_overflow 0
		.amdhsa_exception_fp_ieee_invalid_op 0
		.amdhsa_exception_fp_denorm_src 0
		.amdhsa_exception_fp_ieee_div_zero 0
		.amdhsa_exception_fp_ieee_overflow 0
		.amdhsa_exception_fp_ieee_underflow 0
		.amdhsa_exception_fp_ieee_inexact 0
		.amdhsa_exception_int_div_zero 0
	.end_amdhsa_kernel
	.text
.Lfunc_end0:
	.size	bluestein_single_fwd_len896_dim1_sp_op_CI_CI, .Lfunc_end0-bluestein_single_fwd_len896_dim1_sp_op_CI_CI
                                        ; -- End function
	.section	.AMDGPU.csdata,"",@progbits
; Kernel info:
; codeLenInByte = 8832
; NumSgprs: 24
; NumVgprs: 143
; ScratchSize: 0
; MemoryBound: 0
; FloatMode: 240
; IeeeMode: 1
; LDSByteSize: 7168 bytes/workgroup (compile time only)
; SGPRBlocks: 2
; VGPRBlocks: 35
; NumSGPRsForWavesPerEU: 24
; NumVGPRsForWavesPerEU: 143
; Occupancy: 1
; WaveLimiterHint : 1
; COMPUTE_PGM_RSRC2:SCRATCH_EN: 0
; COMPUTE_PGM_RSRC2:USER_SGPR: 6
; COMPUTE_PGM_RSRC2:TRAP_HANDLER: 0
; COMPUTE_PGM_RSRC2:TGID_X_EN: 1
; COMPUTE_PGM_RSRC2:TGID_Y_EN: 0
; COMPUTE_PGM_RSRC2:TGID_Z_EN: 0
; COMPUTE_PGM_RSRC2:TIDIG_COMP_CNT: 0
	.type	__hip_cuid_13712973725b4abb,@object ; @__hip_cuid_13712973725b4abb
	.section	.bss,"aw",@nobits
	.globl	__hip_cuid_13712973725b4abb
__hip_cuid_13712973725b4abb:
	.byte	0                               ; 0x0
	.size	__hip_cuid_13712973725b4abb, 1

	.ident	"AMD clang version 19.0.0git (https://github.com/RadeonOpenCompute/llvm-project roc-6.4.0 25133 c7fe45cf4b819c5991fe208aaa96edf142730f1d)"
	.section	".note.GNU-stack","",@progbits
	.addrsig
	.addrsig_sym __hip_cuid_13712973725b4abb
	.amdgpu_metadata
---
amdhsa.kernels:
  - .args:
      - .actual_access:  read_only
        .address_space:  global
        .offset:         0
        .size:           8
        .value_kind:     global_buffer
      - .actual_access:  read_only
        .address_space:  global
        .offset:         8
        .size:           8
        .value_kind:     global_buffer
      - .actual_access:  read_only
        .address_space:  global
        .offset:         16
        .size:           8
        .value_kind:     global_buffer
      - .actual_access:  read_only
        .address_space:  global
        .offset:         24
        .size:           8
        .value_kind:     global_buffer
      - .actual_access:  read_only
        .address_space:  global
        .offset:         32
        .size:           8
        .value_kind:     global_buffer
      - .offset:         40
        .size:           8
        .value_kind:     by_value
      - .address_space:  global
        .offset:         48
        .size:           8
        .value_kind:     global_buffer
      - .address_space:  global
        .offset:         56
        .size:           8
        .value_kind:     global_buffer
      - .address_space:  global
        .offset:         64
        .size:           8
        .value_kind:     global_buffer
      - .address_space:  global
        .offset:         72
        .size:           8
        .value_kind:     global_buffer
      - .offset:         80
        .size:           4
        .value_kind:     by_value
      - .address_space:  global
        .offset:         88
        .size:           8
        .value_kind:     global_buffer
      - .address_space:  global
        .offset:         96
        .size:           8
        .value_kind:     global_buffer
    .group_segment_fixed_size: 7168
    .kernarg_segment_align: 8
    .kernarg_segment_size: 104
    .language:       OpenCL C
    .language_version:
      - 2
      - 0
    .max_flat_workgroup_size: 112
    .name:           bluestein_single_fwd_len896_dim1_sp_op_CI_CI
    .private_segment_fixed_size: 0
    .sgpr_count:     24
    .sgpr_spill_count: 0
    .symbol:         bluestein_single_fwd_len896_dim1_sp_op_CI_CI.kd
    .uniform_work_group_size: 1
    .uses_dynamic_stack: false
    .vgpr_count:     143
    .vgpr_spill_count: 0
    .wavefront_size: 64
amdhsa.target:   amdgcn-amd-amdhsa--gfx906
amdhsa.version:
  - 1
  - 2
...

	.end_amdgpu_metadata
